;; amdgpu-corpus repo=ROCm/rocFFT kind=compiled arch=gfx1030 opt=O3
	.text
	.amdgcn_target "amdgcn-amd-amdhsa--gfx1030"
	.amdhsa_code_object_version 6
	.protected	fft_rtc_fwd_len2560_factors_4_4_4_10_4_wgs_128_tpt_128_halfLds_half_ip_CI_unitstride_sbrr_dirReg ; -- Begin function fft_rtc_fwd_len2560_factors_4_4_4_10_4_wgs_128_tpt_128_halfLds_half_ip_CI_unitstride_sbrr_dirReg
	.globl	fft_rtc_fwd_len2560_factors_4_4_4_10_4_wgs_128_tpt_128_halfLds_half_ip_CI_unitstride_sbrr_dirReg
	.p2align	8
	.type	fft_rtc_fwd_len2560_factors_4_4_4_10_4_wgs_128_tpt_128_halfLds_half_ip_CI_unitstride_sbrr_dirReg,@function
fft_rtc_fwd_len2560_factors_4_4_4_10_4_wgs_128_tpt_128_halfLds_half_ip_CI_unitstride_sbrr_dirReg: ; @fft_rtc_fwd_len2560_factors_4_4_4_10_4_wgs_128_tpt_128_halfLds_half_ip_CI_unitstride_sbrr_dirReg
; %bb.0:
	s_clause 0x2
	s_load_dwordx4 s[8:11], s[4:5], 0x0
	s_load_dwordx2 s[2:3], s[4:5], 0x50
	s_load_dwordx2 s[12:13], s[4:5], 0x18
	v_mov_b32_e32 v3, 0
	v_mov_b32_e32 v1, 0
	v_mov_b32_e32 v5, s6
	v_mov_b32_e32 v2, 0
	v_mov_b32_e32 v6, v3
	s_waitcnt lgkmcnt(0)
	v_cmp_lt_u64_e64 s0, s[10:11], 2
	s_and_b32 vcc_lo, exec_lo, s0
	s_cbranch_vccnz .LBB0_8
; %bb.1:
	s_load_dwordx2 s[0:1], s[4:5], 0x10
	v_mov_b32_e32 v1, 0
	s_add_u32 s6, s12, 8
	v_mov_b32_e32 v2, 0
	s_addc_u32 s7, s13, 0
	s_mov_b64 s[16:17], 1
	s_waitcnt lgkmcnt(0)
	s_add_u32 s14, s0, 8
	s_addc_u32 s15, s1, 0
.LBB0_2:                                ; =>This Inner Loop Header: Depth=1
	s_load_dwordx2 s[18:19], s[14:15], 0x0
                                        ; implicit-def: $vgpr7_vgpr8
	s_mov_b32 s0, exec_lo
	s_waitcnt lgkmcnt(0)
	v_or_b32_e32 v4, s19, v6
	v_cmpx_ne_u64_e32 0, v[3:4]
	s_xor_b32 s1, exec_lo, s0
	s_cbranch_execz .LBB0_4
; %bb.3:                                ;   in Loop: Header=BB0_2 Depth=1
	v_cvt_f32_u32_e32 v4, s18
	v_cvt_f32_u32_e32 v7, s19
	s_sub_u32 s0, 0, s18
	s_subb_u32 s20, 0, s19
	v_fmac_f32_e32 v4, 0x4f800000, v7
	v_rcp_f32_e32 v4, v4
	v_mul_f32_e32 v4, 0x5f7ffffc, v4
	v_mul_f32_e32 v7, 0x2f800000, v4
	v_trunc_f32_e32 v7, v7
	v_fmac_f32_e32 v4, 0xcf800000, v7
	v_cvt_u32_f32_e32 v7, v7
	v_cvt_u32_f32_e32 v4, v4
	v_mul_lo_u32 v8, s0, v7
	v_mul_hi_u32 v9, s0, v4
	v_mul_lo_u32 v10, s20, v4
	v_add_nc_u32_e32 v8, v9, v8
	v_mul_lo_u32 v9, s0, v4
	v_add_nc_u32_e32 v8, v8, v10
	v_mul_hi_u32 v10, v4, v9
	v_mul_lo_u32 v11, v4, v8
	v_mul_hi_u32 v12, v4, v8
	v_mul_hi_u32 v13, v7, v9
	v_mul_lo_u32 v9, v7, v9
	v_mul_hi_u32 v14, v7, v8
	v_mul_lo_u32 v8, v7, v8
	v_add_co_u32 v10, vcc_lo, v10, v11
	v_add_co_ci_u32_e32 v11, vcc_lo, 0, v12, vcc_lo
	v_add_co_u32 v9, vcc_lo, v10, v9
	v_add_co_ci_u32_e32 v9, vcc_lo, v11, v13, vcc_lo
	v_add_co_ci_u32_e32 v10, vcc_lo, 0, v14, vcc_lo
	v_add_co_u32 v8, vcc_lo, v9, v8
	v_add_co_ci_u32_e32 v9, vcc_lo, 0, v10, vcc_lo
	v_add_co_u32 v4, vcc_lo, v4, v8
	v_add_co_ci_u32_e32 v7, vcc_lo, v7, v9, vcc_lo
	v_mul_hi_u32 v8, s0, v4
	v_mul_lo_u32 v10, s20, v4
	v_mul_lo_u32 v9, s0, v7
	v_add_nc_u32_e32 v8, v8, v9
	v_mul_lo_u32 v9, s0, v4
	v_add_nc_u32_e32 v8, v8, v10
	v_mul_hi_u32 v10, v4, v9
	v_mul_lo_u32 v11, v4, v8
	v_mul_hi_u32 v12, v4, v8
	v_mul_hi_u32 v13, v7, v9
	v_mul_lo_u32 v9, v7, v9
	v_mul_hi_u32 v14, v7, v8
	v_mul_lo_u32 v8, v7, v8
	v_add_co_u32 v10, vcc_lo, v10, v11
	v_add_co_ci_u32_e32 v11, vcc_lo, 0, v12, vcc_lo
	v_add_co_u32 v9, vcc_lo, v10, v9
	v_add_co_ci_u32_e32 v9, vcc_lo, v11, v13, vcc_lo
	v_add_co_ci_u32_e32 v10, vcc_lo, 0, v14, vcc_lo
	v_add_co_u32 v8, vcc_lo, v9, v8
	v_add_co_ci_u32_e32 v9, vcc_lo, 0, v10, vcc_lo
	v_add_co_u32 v4, vcc_lo, v4, v8
	v_add_co_ci_u32_e32 v11, vcc_lo, v7, v9, vcc_lo
	v_mul_hi_u32 v13, v5, v4
	v_mad_u64_u32 v[9:10], null, v6, v4, 0
	v_mad_u64_u32 v[7:8], null, v5, v11, 0
	;; [unrolled: 1-line block ×3, first 2 shown]
	v_add_co_u32 v4, vcc_lo, v13, v7
	v_add_co_ci_u32_e32 v7, vcc_lo, 0, v8, vcc_lo
	v_add_co_u32 v4, vcc_lo, v4, v9
	v_add_co_ci_u32_e32 v4, vcc_lo, v7, v10, vcc_lo
	v_add_co_ci_u32_e32 v7, vcc_lo, 0, v12, vcc_lo
	v_add_co_u32 v4, vcc_lo, v4, v11
	v_add_co_ci_u32_e32 v9, vcc_lo, 0, v7, vcc_lo
	v_mul_lo_u32 v10, s19, v4
	v_mad_u64_u32 v[7:8], null, s18, v4, 0
	v_mul_lo_u32 v11, s18, v9
	v_sub_co_u32 v7, vcc_lo, v5, v7
	v_add3_u32 v8, v8, v11, v10
	v_sub_nc_u32_e32 v10, v6, v8
	v_subrev_co_ci_u32_e64 v10, s0, s19, v10, vcc_lo
	v_add_co_u32 v11, s0, v4, 2
	v_add_co_ci_u32_e64 v12, s0, 0, v9, s0
	v_sub_co_u32 v13, s0, v7, s18
	v_sub_co_ci_u32_e32 v8, vcc_lo, v6, v8, vcc_lo
	v_subrev_co_ci_u32_e64 v10, s0, 0, v10, s0
	v_cmp_le_u32_e32 vcc_lo, s18, v13
	v_cmp_eq_u32_e64 s0, s19, v8
	v_cndmask_b32_e64 v13, 0, -1, vcc_lo
	v_cmp_le_u32_e32 vcc_lo, s19, v10
	v_cndmask_b32_e64 v14, 0, -1, vcc_lo
	v_cmp_le_u32_e32 vcc_lo, s18, v7
	;; [unrolled: 2-line block ×3, first 2 shown]
	v_cndmask_b32_e64 v15, 0, -1, vcc_lo
	v_cmp_eq_u32_e32 vcc_lo, s19, v10
	v_cndmask_b32_e64 v7, v15, v7, s0
	v_cndmask_b32_e32 v10, v14, v13, vcc_lo
	v_add_co_u32 v13, vcc_lo, v4, 1
	v_add_co_ci_u32_e32 v14, vcc_lo, 0, v9, vcc_lo
	v_cmp_ne_u32_e32 vcc_lo, 0, v10
	v_cndmask_b32_e32 v8, v14, v12, vcc_lo
	v_cndmask_b32_e32 v10, v13, v11, vcc_lo
	v_cmp_ne_u32_e32 vcc_lo, 0, v7
	v_cndmask_b32_e32 v8, v9, v8, vcc_lo
	v_cndmask_b32_e32 v7, v4, v10, vcc_lo
.LBB0_4:                                ;   in Loop: Header=BB0_2 Depth=1
	s_andn2_saveexec_b32 s0, s1
	s_cbranch_execz .LBB0_6
; %bb.5:                                ;   in Loop: Header=BB0_2 Depth=1
	v_cvt_f32_u32_e32 v4, s18
	s_sub_i32 s1, 0, s18
	v_rcp_iflag_f32_e32 v4, v4
	v_mul_f32_e32 v4, 0x4f7ffffe, v4
	v_cvt_u32_f32_e32 v4, v4
	v_mul_lo_u32 v7, s1, v4
	v_mul_hi_u32 v7, v4, v7
	v_add_nc_u32_e32 v4, v4, v7
	v_mul_hi_u32 v4, v5, v4
	v_mul_lo_u32 v7, v4, s18
	v_add_nc_u32_e32 v8, 1, v4
	v_sub_nc_u32_e32 v7, v5, v7
	v_subrev_nc_u32_e32 v9, s18, v7
	v_cmp_le_u32_e32 vcc_lo, s18, v7
	v_cndmask_b32_e32 v7, v7, v9, vcc_lo
	v_cndmask_b32_e32 v4, v4, v8, vcc_lo
	v_cmp_le_u32_e32 vcc_lo, s18, v7
	v_add_nc_u32_e32 v8, 1, v4
	v_cndmask_b32_e32 v7, v4, v8, vcc_lo
	v_mov_b32_e32 v8, v3
.LBB0_6:                                ;   in Loop: Header=BB0_2 Depth=1
	s_or_b32 exec_lo, exec_lo, s0
	s_load_dwordx2 s[0:1], s[6:7], 0x0
	v_mul_lo_u32 v4, v8, s18
	v_mul_lo_u32 v11, v7, s19
	v_mad_u64_u32 v[9:10], null, v7, s18, 0
	s_add_u32 s16, s16, 1
	s_addc_u32 s17, s17, 0
	s_add_u32 s6, s6, 8
	s_addc_u32 s7, s7, 0
	;; [unrolled: 2-line block ×3, first 2 shown]
	v_add3_u32 v4, v10, v11, v4
	v_sub_co_u32 v5, vcc_lo, v5, v9
	v_sub_co_ci_u32_e32 v4, vcc_lo, v6, v4, vcc_lo
	s_waitcnt lgkmcnt(0)
	v_mul_lo_u32 v6, s1, v5
	v_mul_lo_u32 v4, s0, v4
	v_mad_u64_u32 v[1:2], null, s0, v5, v[1:2]
	v_cmp_ge_u64_e64 s0, s[16:17], s[10:11]
	s_and_b32 vcc_lo, exec_lo, s0
	v_add3_u32 v2, v6, v2, v4
	s_cbranch_vccnz .LBB0_9
; %bb.7:                                ;   in Loop: Header=BB0_2 Depth=1
	v_mov_b32_e32 v5, v7
	v_mov_b32_e32 v6, v8
	s_branch .LBB0_2
.LBB0_8:
	v_mov_b32_e32 v8, v6
	v_mov_b32_e32 v7, v5
.LBB0_9:
	s_lshl_b64 s[0:1], s[10:11], 3
	v_or_b32_e32 v12, 0x80, v0
	s_add_u32 s0, s12, s0
	s_addc_u32 s1, s13, s1
	v_or_b32_e32 v13, 0x100, v0
	s_load_dwordx2 s[0:1], s[0:1], 0x0
	s_load_dwordx2 s[4:5], s[4:5], 0x20
	v_or_b32_e32 v14, 0x180, v0
	v_or_b32_e32 v15, 0x200, v0
	s_waitcnt lgkmcnt(0)
	v_mul_lo_u32 v3, s0, v8
	v_mul_lo_u32 v4, s1, v7
	v_mad_u64_u32 v[1:2], null, s0, v7, v[1:2]
	v_cmp_gt_u64_e32 vcc_lo, s[4:5], v[7:8]
	v_cmp_le_u64_e64 s0, s[4:5], v[7:8]
                                        ; implicit-def: $sgpr4
	v_add3_u32 v2, v4, v2, v3
	s_and_saveexec_b32 s1, s0
	s_xor_b32 s0, exec_lo, s1
; %bb.10:
	v_or_b32_e32 v12, 0x80, v0
	v_or_b32_e32 v13, 0x100, v0
	;; [unrolled: 1-line block ×4, first 2 shown]
	s_mov_b32 s4, 0
; %bb.11:
	s_or_saveexec_b32 s1, s0
	v_lshlrev_b64 v[9:10], 2, v[1:2]
	v_mov_b32_e32 v27, s4
	v_lshlrev_b32_e32 v11, 2, v0
	v_mov_b32_e32 v33, s4
	v_mov_b32_e32 v28, s4
	;; [unrolled: 1-line block ×9, first 2 shown]
                                        ; implicit-def: $vgpr36
                                        ; implicit-def: $vgpr2
                                        ; implicit-def: $vgpr37
                                        ; implicit-def: $vgpr3
                                        ; implicit-def: $vgpr34
                                        ; implicit-def: $vgpr32
                                        ; implicit-def: $vgpr35
                                        ; implicit-def: $vgpr31
                                        ; implicit-def: $vgpr29
                                        ; implicit-def: $vgpr25
                                        ; implicit-def: $vgpr30
                                        ; implicit-def: $vgpr26
                                        ; implicit-def: $vgpr23
                                        ; implicit-def: $vgpr20
                                        ; implicit-def: $vgpr24
                                        ; implicit-def: $vgpr21
                                        ; implicit-def: $vgpr17
                                        ; implicit-def: $vgpr7
                                        ; implicit-def: $vgpr18
                                        ; implicit-def: $vgpr8
	s_xor_b32 exec_lo, exec_lo, s1
	s_cbranch_execz .LBB0_13
; %bb.12:
	v_add_co_u32 v8, s0, s2, v9
	v_add_co_ci_u32_e64 v22, s0, s3, v10, s0
	v_or_b32_e32 v1, 0x1400, v11
	v_add_co_u32 v16, s0, v8, v11
	v_or_b32_e32 v3, 0x1e00, v11
	v_add_co_ci_u32_e64 v17, s0, 0, v22, s0
	v_add_co_u32 v1, s0, v8, v1
	v_or_b32_e32 v5, 0xc00, v11
	v_add_co_ci_u32_e64 v2, s0, 0, v22, s0
	;; [unrolled: 3-line block ×3, first 2 shown]
	v_add_co_u32 v5, s0, v8, v5
	v_add_co_ci_u32_e64 v6, s0, 0, v22, s0
	v_add_co_u32 v23, s0, v8, v7
	v_or_b32_e32 v7, 0x1600, v11
	s_clause 0x2
	global_load_dword v2, v[1:2], off
	global_load_dword v3, v[3:4], off
	;; [unrolled: 1-line block ×3, first 2 shown]
	v_or_b32_e32 v6, 0x2000, v11
	v_add_co_ci_u32_e64 v24, s0, 0, v22, s0
	v_add_co_u32 v4, s0, v8, v7
	v_or_b32_e32 v18, 0xe00, v11
	v_add_co_ci_u32_e64 v5, s0, 0, v22, s0
	v_add_co_u32 v6, s0, v8, v6
	;; [unrolled: 3-line block ×7, first 2 shown]
	v_lshlrev_b32_e32 v25, 2, v15
	v_add_co_ci_u32_e64 v34, s0, 0, v22, s0
	v_add_co_u32 v35, s0, v8, v30
	v_or_b32_e32 v30, 0x1200, v11
	v_add_co_ci_u32_e64 v36, s0, 0, v22, s0
	v_add_co_u32 v37, s0, v8, v25
	v_or_b32_e32 v25, 0x1c00, v11
	v_add_co_ci_u32_e64 v38, s0, 0, v22, s0
	v_add_co_u32 v39, s0, v8, v30
	v_or_b32_e32 v30, 0x2600, v11
	v_add_co_ci_u32_e64 v40, s0, 0, v22, s0
	v_add_co_u32 v41, s0, v8, v25
	v_add_co_ci_u32_e64 v42, s0, 0, v22, s0
	v_add_co_u32 v43, s0, v8, v30
	v_add_co_ci_u32_e64 v44, s0, 0, v22, s0
	s_clause 0x10
	global_load_dword v32, v[4:5], off
	global_load_dword v31, v[6:7], off
	;; [unrolled: 1-line block ×13, first 2 shown]
	global_load_dword v28, v[16:17], off offset:512
	global_load_dword v22, v[16:17], off offset:1024
	global_load_dword v33, v[23:24], off
	global_load_dword v16, v[16:17], off offset:1536
	s_waitcnt vmcnt(19)
	v_lshrrev_b32_e32 v36, 16, v2
	s_waitcnt vmcnt(18)
	v_lshrrev_b32_e32 v37, 16, v3
	s_waitcnt vmcnt(16)
	v_lshrrev_b32_e32 v34, 16, v32
	s_waitcnt vmcnt(15)
	v_lshrrev_b32_e32 v35, 16, v31
	s_waitcnt vmcnt(13)
	v_lshrrev_b32_e32 v29, 16, v25
	s_waitcnt vmcnt(12)
	v_lshrrev_b32_e32 v30, 16, v26
	s_waitcnt vmcnt(10)
	v_lshrrev_b32_e32 v23, 16, v20
	s_waitcnt vmcnt(9)
	v_lshrrev_b32_e32 v24, 16, v21
	s_waitcnt vmcnt(6)
	v_lshrrev_b32_e32 v17, 16, v7
	s_waitcnt vmcnt(5)
	v_lshrrev_b32_e32 v18, 16, v8
.LBB0_13:
	s_or_b32 exec_lo, exec_lo, s1
	s_waitcnt vmcnt(4)
	v_lshrrev_b32_e32 v38, 16, v27
	s_waitcnt vmcnt(1)
	v_lshrrev_b32_e32 v39, 16, v33
	v_sub_f16_e32 v2, v27, v2
	v_sub_f16_e32 v3, v33, v3
	s_waitcnt vmcnt(0)
	v_sub_f16_e32 v20, v16, v20
	v_sub_f16_e32 v36, v38, v36
	;; [unrolled: 1-line block ×4, first 2 shown]
	v_lshrrev_b32_e32 v40, 16, v28
	v_fma_f16 v27, v27, 2.0, -v2
	v_fma_f16 v33, v33, 2.0, -v3
	;; [unrolled: 1-line block ×4, first 2 shown]
	v_lshrrev_b32_e32 v44, 16, v16
	v_lshrrev_b32_e32 v45, 16, v6
	v_fma_f16 v16, v16, 2.0, -v20
	v_fma_f16 v6, v6, 2.0, -v21
	v_sub_f16_e32 v32, v28, v32
	v_lshrrev_b32_e32 v41, 16, v1
	v_sub_f16_e32 v31, v1, v31
	v_sub_f16_e32 v33, v27, v33
	;; [unrolled: 1-line block ×4, first 2 shown]
	v_lshrrev_b32_e32 v43, 16, v19
	v_sub_f16_e32 v25, v22, v25
	v_sub_f16_e32 v26, v19, v26
	;; [unrolled: 1-line block ×3, first 2 shown]
	v_lshrrev_b32_e32 v46, 16, v4
	v_lshrrev_b32_e32 v47, 16, v5
	v_sub_f16_e32 v7, v4, v7
	v_sub_f16_e32 v8, v5, v8
	;; [unrolled: 1-line block ×3, first 2 shown]
	v_fma_f16 v28, v28, 2.0, -v32
	v_fma_f16 v1, v1, 2.0, -v31
	v_add_f16_e32 v42, v36, v3
	v_fma_f16 v3, v27, 2.0, -v33
	v_fma_f16 v27, v38, 2.0, -v39
	;; [unrolled: 1-line block ×3, first 2 shown]
	v_lshrrev_b32_e32 v40, 16, v22
	v_sub_f16_e32 v30, v43, v30
	v_fma_f16 v22, v22, 2.0, -v25
	v_fma_f16 v19, v19, 2.0, -v26
	v_sub_f16_e32 v24, v45, v24
	v_fma_f16 v48, v16, 2.0, -v6
	v_sub_f16_e32 v16, v46, v17
	v_sub_f16_e32 v17, v47, v18
	;; [unrolled: 1-line block ×3, first 2 shown]
	v_fma_f16 v4, v4, 2.0, -v7
	v_fma_f16 v5, v5, 2.0, -v8
	v_sub_f16_e32 v37, v2, v37
	v_fma_f16 v41, v41, 2.0, -v35
	v_sub_f16_e32 v1, v28, v1
	v_sub_f16_e32 v35, v32, v35
	v_fma_f16 v43, v43, 2.0, -v30
	v_sub_f16_e32 v19, v22, v19
	;; [unrolled: 3-line block ×3, first 2 shown]
	v_fma_f16 v18, v46, 2.0, -v16
	v_fma_f16 v46, v47, 2.0, -v17
	v_add_f16_e32 v47, v23, v21
	v_sub_f16_e32 v5, v4, v5
	v_sub_f16_e32 v21, v7, v17
	v_fma_f16 v2, v2, 2.0, -v37
	v_sub_f16_e32 v29, v40, v29
	v_fma_f16 v28, v28, 2.0, -v1
	v_fma_f16 v32, v32, 2.0, -v35
	v_add_f16_e32 v49, v16, v8
	v_fma_f16 v22, v22, 2.0, -v19
	v_fma_f16 v25, v25, 2.0, -v30
	;; [unrolled: 1-line block ×3, first 2 shown]
	v_sub_f16_e32 v46, v18, v46
	v_fma_f16 v4, v4, 2.0, -v5
	v_fma_f16 v7, v7, 2.0, -v21
	;; [unrolled: 1-line block ×4, first 2 shown]
	v_lshl_add_u32 v53, v0, 3, 0
	v_pack_b32_f16 v8, v33, v37
	v_pack_b32_f16 v2, v3, v2
	v_fma_f16 v52, v16, 2.0, -v49
	v_lshl_add_u32 v16, v12, 3, 0
	v_pack_b32_f16 v1, v1, v35
	v_pack_b32_f16 v3, v28, v32
	v_fma_f16 v44, v44, 2.0, -v23
	v_fma_f16 v50, v23, 2.0, -v47
	v_lshl_add_u32 v17, v13, 3, 0
	v_pack_b32_f16 v23, v19, v30
	v_pack_b32_f16 v22, v22, v25
	v_fma_f16 v51, v18, 2.0, -v46
	v_lshl_add_u32 v18, v14, 3, 0
	v_pack_b32_f16 v6, v6, v24
	v_pack_b32_f16 v20, v48, v20
	v_lshl_add_u32 v19, v15, 3, 0
	v_pack_b32_f16 v5, v5, v21
	v_pack_b32_f16 v4, v4, v7
	v_sub_f16_e32 v41, v38, v41
	v_add_f16_e32 v31, v34, v31
	v_sub_f16_e32 v43, v40, v43
	v_add_f16_e32 v26, v29, v26
	ds_write2_b32 v53, v2, v8 offset1:1
	ds_write2_b32 v16, v3, v1 offset1:1
	;; [unrolled: 1-line block ×5, first 2 shown]
	v_mad_i32_i24 v20, v0, -6, v53
	v_pack_b32_f16 v4, v39, v42
	v_pack_b32_f16 v5, v27, v36
	v_sub_f16_e32 v45, v44, v45
	v_mad_i32_i24 v21, v12, -6, v16
	v_mad_i32_i24 v22, v13, -6, v17
	;; [unrolled: 1-line block ×3, first 2 shown]
	v_fma_f16 v38, v38, 2.0, -v41
	v_fma_f16 v34, v34, 2.0, -v31
	;; [unrolled: 1-line block ×4, first 2 shown]
	s_waitcnt lgkmcnt(0)
	s_barrier
	buffer_gl0_inv
	ds_read_u16 v1, v20
	ds_read_u16 v30, v20 offset:1280
	ds_read_u16 v32, v20 offset:1536
	;; [unrolled: 1-line block ×4, first 2 shown]
	v_mad_i32_i24 v24, v15, -6, v19
	ds_read_u16 v37, v20 offset:3072
	ds_read_u16 v48, v20 offset:3328
	ds_read_u16 v25, v21
	ds_read_u16 v8, v22
	;; [unrolled: 1-line block ×4, first 2 shown]
	ds_read_u16 v54, v20 offset:2816
	ds_read_u16 v55, v20 offset:2560
	;; [unrolled: 1-line block ×9, first 2 shown]
	s_waitcnt lgkmcnt(0)
	s_barrier
	buffer_gl0_inv
	ds_write2_b32 v53, v5, v4 offset1:1
	v_pack_b32_f16 v4, v41, v31
	v_and_b32_e32 v31, 3, v0
	v_fma_f16 v44, v44, 2.0, -v45
	v_pack_b32_f16 v5, v38, v34
	v_pack_b32_f16 v7, v40, v29
	;; [unrolled: 1-line block ×3, first 2 shown]
	v_mul_u32_u24_e32 v29, 3, v31
	v_pack_b32_f16 v26, v45, v47
	v_pack_b32_f16 v27, v44, v50
	v_pack_b32_f16 v28, v46, v49
	v_pack_b32_f16 v34, v51, v52
	ds_write2_b32 v16, v5, v4 offset1:1
	ds_write2_b32 v17, v7, v6 offset1:1
	;; [unrolled: 1-line block ×3, first 2 shown]
	v_lshlrev_b32_e32 v4, 2, v29
	v_lshlrev_b32_e32 v5, 2, v13
	;; [unrolled: 1-line block ×3, first 2 shown]
	ds_write2_b32 v19, v34, v28 offset1:1
	s_waitcnt lgkmcnt(0)
	s_barrier
	buffer_gl0_inv
	global_load_dwordx3 v[26:28], v4, s[8:9]
	v_lshlrev_b32_e32 v4, 2, v12
	v_lshlrev_b32_e32 v7, 2, v15
	v_and_or_b32 v29, 0x1f0, v11, v31
	v_and_or_b32 v38, 0x5f0, v5, v31
	;; [unrolled: 1-line block ×5, first 2 shown]
	v_lshl_add_u32 v44, v29, 1, 0
	v_lshl_add_u32 v46, v38, 1, 0
	;; [unrolled: 1-line block ×5, first 2 shown]
	ds_read_u16 v29, v20 offset:3840
	ds_read_u16 v31, v20 offset:2560
	ds_read_u16 v34, v20 offset:2816
	ds_read_u16 v38, v20 offset:1280
	ds_read_u16 v40, v20 offset:1536
	ds_read_u16 v41, v20 offset:1792
	ds_read_u16 v43, v20 offset:2048
	ds_read_u16 v50, v20 offset:2304
	ds_read_u16 v51, v20
	ds_read_u16 v52, v20 offset:3072
	ds_read_u16 v53, v20 offset:3328
	;; [unrolled: 1-line block ×7, first 2 shown]
	ds_read_u16 v65, v21
	ds_read_u16 v66, v22
	;; [unrolled: 1-line block ×4, first 2 shown]
	s_waitcnt vmcnt(0) lgkmcnt(0)
	s_barrier
	buffer_gl0_inv
	v_mul_f16_sdwa v69, v38, v26 dst_sel:DWORD dst_unused:UNUSED_PAD src0_sel:DWORD src1_sel:WORD_1
	v_mul_f16_sdwa v70, v30, v26 dst_sel:DWORD dst_unused:UNUSED_PAD src0_sel:DWORD src1_sel:WORD_1
	;; [unrolled: 1-line block ×25, first 2 shown]
	v_fma_f16 v30, v30, v26, -v69
	v_mul_f16_sdwa v69, v56, v26 dst_sel:DWORD dst_unused:UNUSED_PAD src0_sel:DWORD src1_sel:WORD_1
	v_fmac_f16_e32 v70, v38, v26
	v_mul_f16_sdwa v38, v64, v27 dst_sel:DWORD dst_unused:UNUSED_PAD src0_sel:DWORD src1_sel:WORD_1
	v_fma_f16 v55, v55, v27, -v71
	v_mul_f16_sdwa v71, v42, v27 dst_sel:DWORD dst_unused:UNUSED_PAD src0_sel:DWORD src1_sel:WORD_1
	v_fmac_f16_e32 v72, v31, v27
	v_mul_f16_sdwa v31, v63, v28 dst_sel:DWORD dst_unused:UNUSED_PAD src0_sel:DWORD src1_sel:WORD_1
	v_fma_f16 v39, v39, v28, -v73
	v_mul_f16_sdwa v73, v59, v28 dst_sel:DWORD dst_unused:UNUSED_PAD src0_sel:DWORD src1_sel:WORD_1
	v_fmac_f16_e32 v74, v29, v28
	v_fma_f16 v29, v32, v26, -v75
	v_fma_f16 v32, v54, v27, -v77
	v_fmac_f16_e32 v78, v34, v27
	v_fma_f16 v34, v36, v28, -v79
	v_fmac_f16_e32 v76, v40, v26
	v_fmac_f16_e32 v80, v60, v28
	;; [unrolled: 1-line block ×3, first 2 shown]
	v_fma_f16 v36, v37, v27, -v83
	v_fmac_f16_e32 v86, v61, v28
	v_fma_f16 v35, v35, v26, -v87
	v_fmac_f16_e32 v88, v43, v26
	v_fma_f16 v40, v48, v27, -v89
	v_fma_f16 v41, v58, v28, -v91
	v_fmac_f16_e32 v92, v62, v28
	v_fma_f16 v33, v33, v26, -v81
	v_fmac_f16_e32 v84, v52, v27
	v_fma_f16 v37, v57, v28, -v85
	v_fmac_f16_e32 v90, v53, v27
	v_fma_f16 v43, v56, v26, -v93
	v_fmac_f16_e32 v69, v50, v26
	v_fma_f16 v26, v42, v27, -v38
	v_fmac_f16_e32 v71, v64, v27
	v_fma_f16 v27, v59, v28, -v31
	v_fmac_f16_e32 v73, v63, v28
	v_sub_f16_e32 v28, v1, v55
	v_sub_f16_e32 v31, v70, v74
	;; [unrolled: 1-line block ×20, first 2 shown]
	v_fma_f16 v57, v70, 2.0, -v31
	v_sub_f16_e32 v31, v28, v31
	v_fma_f16 v1, v1, 2.0, -v28
	v_fma_f16 v30, v30, 2.0, -v38
	;; [unrolled: 1-line block ×4, first 2 shown]
	v_sub_f16_e32 v58, v32, v42
	v_fma_f16 v51, v51, 2.0, -v39
	v_sub_f16_e32 v59, v36, v48
	v_sub_f16_e32 v60, v40, v41
	v_add_f16_e32 v62, v39, v38
	v_fma_f16 v38, v76, 2.0, -v42
	v_fma_f16 v42, v82, 2.0, -v48
	;; [unrolled: 1-line block ×10, first 2 shown]
	v_sub_f16_e32 v61, v26, v27
	v_fma_f16 v63, v66, 2.0, -v54
	v_fma_f16 v66, v67, 2.0, -v55
	;; [unrolled: 1-line block ×5, first 2 shown]
	v_sub_f16_e32 v28, v1, v30
	v_sub_f16_e32 v29, v25, v29
	;; [unrolled: 1-line block ×4, first 2 shown]
	v_add_f16_e32 v64, v53, v34
	ds_write_b16 v44, v31 offset:24
	v_sub_f16_e32 v31, v8, v33
	v_sub_f16_e32 v33, v3, v35
	;; [unrolled: 1-line block ×3, first 2 shown]
	v_fma_f16 v1, v1, 2.0, -v28
	v_fma_f16 v25, v25, 2.0, -v29
	;; [unrolled: 1-line block ×3, first 2 shown]
	v_sub_f16_e32 v71, v63, v42
	v_add_f16_e32 v65, v54, v37
	v_fma_f16 v51, v51, 2.0, -v57
	v_fma_f16 v72, v41, 2.0, -v70
	;; [unrolled: 1-line block ×7, first 2 shown]
	ds_write_b16 v44, v27 offset:8
	ds_write_b16 v44, v28 offset:16
	v_fma_f16 v8, v8, 2.0, -v31
	v_fma_f16 v3, v3, 2.0, -v33
	;; [unrolled: 1-line block ×3, first 2 shown]
	ds_write_b16 v44, v1
	ds_write_b16 v45, v25
	ds_write_b16 v45, v30 offset:8
	ds_write_b16 v45, v29 offset:16
	ds_write_b16 v45, v58 offset:24
	ds_write_b16 v46, v8
	ds_write_b16 v46, v32 offset:8
	ds_write_b16 v46, v31 offset:16
	ds_write_b16 v46, v59 offset:24
	;; [unrolled: 4-line block ×4, first 2 shown]
	v_sub_f16_e32 v1, v66, v48
	v_add_f16_e32 v2, v55, v50
	v_fma_f16 v63, v63, 2.0, -v71
	s_waitcnt lgkmcnt(0)
	s_barrier
	buffer_gl0_inv
	ds_read_u16 v27, v20
	ds_read_u16 v40, v20 offset:1280
	ds_read_u16 v37, v20 offset:1536
	;; [unrolled: 1-line block ×6, first 2 shown]
	ds_read_u16 v28, v21
	ds_read_u16 v26, v22
	;; [unrolled: 1-line block ×4, first 2 shown]
	ds_read_u16 v39, v20 offset:2816
	ds_read_u16 v42, v20 offset:2560
	;; [unrolled: 1-line block ×9, first 2 shown]
	s_waitcnt lgkmcnt(0)
	s_barrier
	buffer_gl0_inv
	ds_write_b16 v44, v51
	ds_write_b16 v44, v69 offset:8
	ds_write_b16 v44, v57 offset:16
	;; [unrolled: 1-line block ×3, first 2 shown]
	v_fma_f16 v48, v54, 2.0, -v65
	ds_write_b16 v45, v72
	ds_write_b16 v45, v53 offset:8
	ds_write_b16 v45, v70 offset:16
	;; [unrolled: 1-line block ×3, first 2 shown]
	ds_write_b16 v46, v63
	ds_write_b16 v46, v48 offset:8
	ds_write_b16 v46, v71 offset:16
	v_and_b32_e32 v45, 15, v0
	v_fma_f16 v50, v66, 2.0, -v1
	v_fma_f16 v51, v55, 2.0, -v2
	ds_write_b16 v46, v65 offset:24
	ds_write_b16 v47, v50
	ds_write_b16 v47, v51 offset:8
	ds_write_b16 v47, v1 offset:16
	v_mul_u32_u24_e32 v1, 3, v45
	v_sub_f16_e32 v3, v67, v68
	v_add_f16_e32 v44, v56, v52
	v_and_b32_e32 v46, 63, v0
	v_and_or_b32 v4, 0x3c0, v4, v45
	v_lshlrev_b32_e32 v1, 2, v1
	v_fma_f16 v52, v67, 2.0, -v3
	v_fma_f16 v54, v56, 2.0, -v44
	ds_write_b16 v47, v2 offset:24
	ds_write_b16 v49, v52
	ds_write_b16 v49, v54 offset:8
	ds_write_b16 v49, v3 offset:16
	;; [unrolled: 1-line block ×3, first 2 shown]
	s_waitcnt lgkmcnt(0)
	s_barrier
	buffer_gl0_inv
	global_load_dwordx3 v[1:3], v1, s[8:9] offset:48
	v_and_or_b32 v44, 0x1c0, v11, v45
	v_and_or_b32 v5, 0x5c0, v5, v45
	;; [unrolled: 1-line block ×4, first 2 shown]
	v_mul_u32_u24_e32 v45, 9, v46
	v_lshl_add_u32 v47, v44, 1, 0
	ds_read_u16 v44, v20 offset:2816
	ds_read_u16 v48, v20 offset:1280
	;; [unrolled: 1-line block ×15, first 2 shown]
	ds_read_u16 v62, v20
	ds_read_u16 v63, v21
	;; [unrolled: 1-line block ×5, first 2 shown]
	v_lshl_add_u32 v4, v4, 1, 0
	v_lshl_add_u32 v5, v5, 1, 0
	v_lshlrev_b32_e32 v45, 2, v45
	v_lshl_add_u32 v6, v6, 1, 0
	v_lshl_add_u32 v7, v7, 1, 0
	s_waitcnt vmcnt(0) lgkmcnt(0)
	s_barrier
	buffer_gl0_inv
	v_mul_f16_sdwa v67, v48, v1 dst_sel:DWORD dst_unused:UNUSED_PAD src0_sel:DWORD src1_sel:WORD_1
	v_mul_f16_sdwa v68, v40, v1 dst_sel:DWORD dst_unused:UNUSED_PAD src0_sel:DWORD src1_sel:WORD_1
	;; [unrolled: 1-line block ×25, first 2 shown]
	v_fma_f16 v40, v40, v1, -v67
	v_mul_f16_sdwa v67, v36, v2 dst_sel:DWORD dst_unused:UNUSED_PAD src0_sel:DWORD src1_sel:WORD_1
	v_fmac_f16_e32 v68, v48, v1
	v_mul_f16_sdwa v48, v58, v3 dst_sel:DWORD dst_unused:UNUSED_PAD src0_sel:DWORD src1_sel:WORD_1
	v_mul_f16_sdwa v84, v38, v3 dst_sel:DWORD dst_unused:UNUSED_PAD src0_sel:DWORD src1_sel:WORD_1
	;; [unrolled: 1-line block ×3, first 2 shown]
	v_fma_f16 v42, v42, v2, -v69
	v_mul_f16_sdwa v69, v32, v3 dst_sel:DWORD dst_unused:UNUSED_PAD src0_sel:DWORD src1_sel:WORD_1
	v_fmac_f16_e32 v70, v52, v2
	v_fma_f16 v43, v43, v3, -v71
	v_fmac_f16_e32 v72, v54, v3
	v_fma_f16 v37, v37, v1, -v73
	v_fma_f16 v39, v39, v2, -v75
	;; [unrolled: 1-line block ×3, first 2 shown]
	v_fmac_f16_e32 v74, v49, v1
	v_fmac_f16_e32 v76, v44, v2
	;; [unrolled: 1-line block ×3, first 2 shown]
	v_fma_f16 v33, v33, v1, -v79
	v_fmac_f16_e32 v80, v50, v1
	v_fma_f16 v34, v34, v2, -v81
	v_fmac_f16_e32 v82, v59, v2
	v_fma_f16 v38, v38, v3, -v83
	v_fma_f16 v29, v29, v1, -v85
	v_fmac_f16_e32 v86, v51, v1
	v_fma_f16 v30, v30, v2, -v87
	v_fmac_f16_e32 v88, v61, v2
	v_fma_f16 v35, v35, v3, -v89
	;; [unrolled: 5-line block ×3, first 2 shown]
	v_fmac_f16_e32 v84, v56, v3
	v_fmac_f16_e32 v90, v57, v3
	;; [unrolled: 1-line block ×3, first 2 shown]
	v_sub_f16_e32 v3, v27, v42
	v_sub_f16_e32 v32, v62, v70
	;; [unrolled: 1-line block ×20, first 2 shown]
	v_fma_f16 v27, v27, 2.0, -v3
	v_fma_f16 v54, v62, 2.0, -v32
	;; [unrolled: 1-line block ×4, first 2 shown]
	v_add_f16_e32 v56, v32, v36
	v_fma_f16 v28, v28, 2.0, -v39
	v_fma_f16 v36, v37, 2.0, -v41
	v_sub_f16_e32 v42, v3, v42
	v_fma_f16 v37, v74, 2.0, -v43
	v_fma_f16 v26, v26, 2.0, -v34
	;; [unrolled: 1-line block ×11, first 2 shown]
	v_add_f16_e32 v61, v50, v41
	v_fma_f16 v41, v64, 2.0, -v51
	v_add_f16_e32 v62, v51, v38
	v_fma_f16 v38, v65, 2.0, -v52
	;; [unrolled: 2-line block ×3, first 2 shown]
	v_sub_f16_e32 v40, v27, v40
	v_sub_f16_e32 v55, v54, v55
	v_fma_f16 v64, v32, 2.0, -v56
	v_sub_f16_e32 v32, v28, v36
	v_sub_f16_e32 v43, v39, v43
	;; [unrolled: 1-line block ×5, first 2 shown]
	v_fma_f16 v3, v3, 2.0, -v42
	v_sub_f16_e32 v33, v26, v33
	v_sub_f16_e32 v29, v25, v29
	;; [unrolled: 1-line block ×4, first 2 shown]
	v_add_f16_e32 v2, v53, v2
	v_sub_f16_e32 v57, v41, v57
	v_sub_f16_e32 v58, v38, v58
	;; [unrolled: 1-line block ×3, first 2 shown]
	v_fma_f16 v27, v27, 2.0, -v40
	v_fma_f16 v54, v54, 2.0, -v55
	v_fma_f16 v28, v28, 2.0, -v32
	v_fma_f16 v36, v39, 2.0, -v43
	v_fma_f16 v34, v34, 2.0, -v44
	v_fma_f16 v30, v30, 2.0, -v48
	v_fma_f16 v1, v1, 2.0, -v49
	ds_write_b16 v47, v42 offset:96
	v_fma_f16 v26, v26, 2.0, -v33
	v_fma_f16 v25, v25, 2.0, -v29
	;; [unrolled: 1-line block ×3, first 2 shown]
	ds_write_b16 v47, v3 offset:32
	ds_write_b16 v47, v40 offset:64
	v_fma_f16 v3, v60, 2.0, -v65
	v_fma_f16 v50, v50, 2.0, -v61
	;; [unrolled: 1-line block ×8, first 2 shown]
	ds_write_b16 v47, v27
	ds_write_b16 v4, v28
	ds_write_b16 v4, v36 offset:32
	ds_write_b16 v4, v32 offset:64
	ds_write_b16 v4, v43 offset:96
	ds_write_b16 v5, v26
	ds_write_b16 v5, v34 offset:32
	ds_write_b16 v5, v33 offset:64
	ds_write_b16 v5, v44 offset:96
	;; [unrolled: 4-line block ×4, first 2 shown]
	s_waitcnt lgkmcnt(0)
	s_barrier
	buffer_gl0_inv
	ds_read_u16 v25, v20
	ds_read_u16 v38, v20 offset:768
	ds_read_u16 v31, v20 offset:2560
	;; [unrolled: 1-line block ×15, first 2 shown]
	ds_read_u16 v43, v24
	ds_read_u16 v44, v22
	;; [unrolled: 1-line block ×3, first 2 shown]
	ds_read_u16 v30, v20 offset:4864
	s_waitcnt lgkmcnt(0)
	s_barrier
	buffer_gl0_inv
	ds_write_b16 v47, v54
	ds_write_b16 v47, v64 offset:32
	ds_write_b16 v47, v55 offset:64
	ds_write_b16 v47, v56 offset:96
	ds_write_b16 v4, v3
	ds_write_b16 v4, v50 offset:32
	ds_write_b16 v4, v65 offset:64
	ds_write_b16 v4, v61 offset:96
	;; [unrolled: 4-line block ×5, first 2 shown]
	s_waitcnt lgkmcnt(0)
	s_barrier
	buffer_gl0_inv
	s_clause 0x2
	global_load_dwordx4 v[1:4], v45, s[8:9] offset:240
	global_load_dwordx4 v[5:8], v45, s[8:9] offset:256
	global_load_dword v45, v45, s[8:9] offset:272
	v_lshrrev_b32_e32 v48, 6, v0
	v_lshrrev_b32_e32 v47, 6, v12
	v_mul_u32_u24_e32 v48, 0x280, v48
	v_mul_lo_u32 v47, 0x280, v47
	v_or_b32_e32 v48, v48, v46
	v_or_b32_e32 v46, v47, v46
	v_lshl_add_u32 v47, v48, 1, 0
	ds_read_u16 v48, v22
	ds_read_u16 v49, v24
	ds_read_u16 v50, v20 offset:768
	ds_read_u16 v51, v20 offset:2560
	;; [unrolled: 1-line block ×16, first 2 shown]
	ds_read_u16 v66, v20
	ds_read_u16 v67, v21
	s_waitcnt vmcnt(0) lgkmcnt(0)
	s_barrier
	buffer_gl0_inv
	v_lshl_add_u32 v46, v46, 1, 0
	v_mul_f16_sdwa v68, v48, v1 dst_sel:DWORD dst_unused:UNUSED_PAD src0_sel:DWORD src1_sel:WORD_1
	v_mul_f16_sdwa v69, v44, v1 dst_sel:DWORD dst_unused:UNUSED_PAD src0_sel:DWORD src1_sel:WORD_1
	;; [unrolled: 1-line block ×26, first 2 shown]
	v_fma_f16 v44, v44, v1, -v68
	v_mul_f16_sdwa v68, v62, v6 dst_sel:DWORD dst_unused:UNUSED_PAD src0_sel:DWORD src1_sel:WORD_1
	v_fmac_f16_e32 v69, v48, v1
	v_mul_f16_sdwa v48, v32, v6 dst_sel:DWORD dst_unused:UNUSED_PAD src0_sel:DWORD src1_sel:WORD_1
	v_fma_f16 v43, v43, v2, -v70
	v_mul_f16_sdwa v70, v60, v7 dst_sel:DWORD dst_unused:UNUSED_PAD src0_sel:DWORD src1_sel:WORD_1
	v_fmac_f16_e32 v71, v49, v2
	v_mul_f16_sdwa v49, v29, v7 dst_sel:DWORD dst_unused:UNUSED_PAD src0_sel:DWORD src1_sel:WORD_1
	;; [unrolled: 4-line block ×5, first 2 shown]
	v_fma_f16 v40, v40, v2, -v78
	v_fmac_f16_e32 v79, v56, v2
	v_fma_f16 v2, v37, v3, -v80
	v_fmac_f16_e32 v81, v54, v3
	;; [unrolled: 2-line block ×13, first 2 shown]
	v_sub_f16_e32 v28, v43, v41
	v_sub_f16_e32 v29, v33, v31
	v_add_f16_e32 v30, v41, v31
	v_add_f16_e32 v32, v43, v33
	v_sub_f16_e32 v37, v41, v43
	v_sub_f16_e32 v39, v31, v33
	;; [unrolled: 1-line block ×8, first 2 shown]
	v_add_f16_e32 v60, v4, v34
	v_add_f16_e32 v61, v42, v8
	v_sub_f16_e32 v63, v4, v42
	v_sub_f16_e32 v64, v34, v8
	;; [unrolled: 1-line block ×4, first 2 shown]
	v_add_f16_e32 v70, v85, v89
	v_add_f16_e32 v72, v73, v53
	v_sub_f16_e32 v80, v40, v3
	v_sub_f16_e32 v82, v7, v5
	v_add_f16_e32 v84, v3, v5
	v_add_f16_e32 v86, v40, v7
	;; [unrolled: 1-line block ×6, first 2 shown]
	v_sub_f16_e32 v76, v85, v73
	v_sub_f16_e32 v78, v89, v53
	;; [unrolled: 1-line block ×4, first 2 shown]
	v_add_f16_e32 v28, v28, v29
	v_sub_f16_e32 v29, v79, v83
	v_fma_f16 v30, -0.5, v30, v25
	v_fmac_f16_e32 v25, -0.5, v32
	v_sub_f16_e32 v32, v55, v48
	v_add_f16_e32 v37, v37, v39
	v_add_f16_e32 v39, v83, v48
	v_add_f16_e32 v45, v45, v50
	v_add_f16_e32 v50, v79, v55
	v_add_f16_e32 v56, v56, v57
	v_sub_f16_e32 v57, v83, v79
	v_add_f16_e32 v58, v58, v59
	v_sub_f16_e32 v59, v48, v55
	v_fma_f16 v60, -0.5, v60, v44
	v_fmac_f16_e32 v44, -0.5, v61
	v_sub_f16_e32 v61, v2, v35
	v_add_f16_e32 v63, v63, v64
	v_sub_f16_e32 v64, v27, v6
	v_add_f16_e32 v74, v69, v73
	v_add_f16_e32 v88, v26, v40
	;; [unrolled: 1-line block ×4, first 2 shown]
	v_fma_f16 v70, -0.5, v70, v69
	v_fmac_f16_e32 v69, -0.5, v72
	v_add_f16_e32 v72, v2, v27
	v_add_f16_e32 v80, v80, v82
	v_sub_f16_e32 v82, v35, v2
	v_fma_f16 v84, -0.5, v84, v26
	v_fmac_f16_e32 v26, -0.5, v86
	v_sub_f16_e32 v86, v6, v27
	v_add_f16_e32 v54, v66, v71
	v_fma_f16 v51, -0.5, v51, v66
	v_fmac_f16_e32 v66, -0.5, v52
	v_add_f16_e32 v52, v67, v79
	v_add_f16_e32 v76, v76, v78
	;; [unrolled: 1-line block ×4, first 2 shown]
	v_sub_f16_e32 v92, v81, v93
	v_add_f16_e32 v29, v29, v32
	v_sub_f16_e32 v32, v1, v49
	v_fma_f16 v39, -0.5, v39, v67
	v_fmac_f16_e32 v67, -0.5, v50
	v_add_f16_e32 v50, v93, v49
	v_add_f16_e32 v57, v57, v59
	;; [unrolled: 1-line block ×5, first 2 shown]
	v_fma_f16 v68, -0.5, v68, v38
	v_fmac_f16_e32 v38, -0.5, v72
	v_sub_f16_e32 v72, v93, v81
	v_add_f16_e32 v82, v82, v86
	v_sub_f16_e32 v86, v49, v1
	v_add_f16_e32 v32, v92, v32
	v_sub_f16_e32 v92, v41, v31
	v_fma_f16 v50, -0.5, v50, v77
	v_fmac_f16_e32 v77, -0.5, v59
	v_sub_f16_e32 v59, v75, v87
	v_add_f16_e32 v36, v36, v41
	v_sub_f16_e32 v41, v85, v89
	v_add_f16_e32 v54, v54, v75
	;; [unrolled: 2-line block ×4, first 2 shown]
	v_sub_f16_e32 v43, v43, v33
	v_sub_f16_e32 v71, v71, v91
	v_add_f16_e32 v52, v52, v83
	v_add_f16_e32 v35, v78, v35
	;; [unrolled: 1-line block ×3, first 2 shown]
	v_sub_f16_e32 v42, v42, v8
	v_add_f16_e32 v72, v72, v86
	v_sub_f16_e32 v86, v4, v34
	v_add_f16_e32 v4, v62, v4
	v_sub_f16_e32 v73, v73, v53
	v_sub_f16_e32 v62, v83, v48
	;; [unrolled: 1-line block ×5, first 2 shown]
	v_add_f16_e32 v31, v36, v31
	v_add_f16_e32 v36, v54, v87
	;; [unrolled: 1-line block ×6, first 2 shown]
	v_fmamk_f16 v48, v71, 0x3b9c, v30
	v_fmac_f16_e32 v30, 0xbb9c, v71
	v_fmamk_f16 v49, v59, 0xbb9c, v25
	v_fmac_f16_e32 v25, 0x3b9c, v59
	;; [unrolled: 2-line block ×3, first 2 shown]
	v_fmamk_f16 v78, v42, 0xbb9c, v70
	v_fmamk_f16 v83, v86, 0x3b9c, v69
	v_add_f16_e32 v4, v4, v34
	v_add_f16_e32 v34, v74, v89
	v_fmamk_f16 v74, v41, 0xbb9c, v44
	v_fmac_f16_e32 v44, 0x3b9c, v41
	v_fmamk_f16 v64, v73, 0x3b9c, v60
	v_fmac_f16_e32 v60, 0xbb9c, v73
	v_sub_f16_e32 v40, v40, v7
	v_fmamk_f16 v54, v92, 0x3b9c, v66
	v_fmac_f16_e32 v66, 0xbb9c, v92
	v_fmac_f16_e32 v70, 0x3b9c, v42
	;; [unrolled: 1-line block ×5, first 2 shown]
	v_fmamk_f16 v59, v81, 0x3b9c, v68
	v_fmac_f16_e32 v68, 0xbb9c, v81
	v_fmac_f16_e32 v49, 0x38b4, v71
	;; [unrolled: 1-line block ×3, first 2 shown]
	v_fmamk_f16 v71, v88, 0xbb9c, v38
	v_fmac_f16_e32 v38, 0x3b9c, v88
	v_add_f16_e32 v36, v36, v91
	v_fmamk_f16 v91, v2, 0xbb9c, v50
	v_fmac_f16_e32 v52, 0xb8b4, v92
	v_fmac_f16_e32 v51, 0x38b4, v92
	v_fmamk_f16 v92, v85, 0x3b9c, v77
	v_fmac_f16_e32 v78, 0xb8b4, v86
	v_fmac_f16_e32 v50, 0x3b9c, v2
	;; [unrolled: 1-line block ×5, first 2 shown]
	v_add_f16_e32 v31, v31, v33
	v_add_f16_e32 v4, v4, v8
	v_fmac_f16_e32 v60, 0xb8b4, v41
	v_sub_f16_e32 v79, v79, v55
	v_fmamk_f16 v93, v40, 0xbb9c, v39
	v_fmac_f16_e32 v39, 0x3b9c, v40
	v_fmac_f16_e32 v64, 0x38b4, v41
	;; [unrolled: 1-line block ×9, first 2 shown]
	v_add_f16_e32 v8, v34, v53
	v_add_f16_e32 v5, v5, v55
	;; [unrolled: 1-line block ×3, first 2 shown]
	v_fmac_f16_e32 v78, 0x34f2, v65
	v_fmac_f16_e32 v50, 0x38b4, v85
	;; [unrolled: 1-line block ×4, first 2 shown]
	v_add_f16_e32 v3, v3, v7
	v_add_f16_e32 v6, v6, v27
	v_fmac_f16_e32 v44, 0x34f2, v63
	v_fmac_f16_e32 v60, 0x34f2, v58
	v_add_f16_e32 v2, v31, v4
	v_fmamk_f16 v87, v79, 0x3b9c, v84
	v_fmac_f16_e32 v84, 0xbb9c, v79
	v_fmamk_f16 v89, v62, 0xbb9c, v26
	v_fmac_f16_e32 v26, 0x3b9c, v62
	;; [unrolled: 2-line block ×3, first 2 shown]
	v_fmac_f16_e32 v93, 0xb8b4, v75
	v_fmac_f16_e32 v39, 0x38b4, v75
	;; [unrolled: 1-line block ×8, first 2 shown]
	v_sub_f16_e32 v4, v31, v4
	v_fmac_f16_e32 v68, 0x34f2, v61
	v_fmac_f16_e32 v38, 0x34f2, v82
	;; [unrolled: 1-line block ×6, first 2 shown]
	v_add_f16_e32 v34, v36, v8
	v_sub_f16_e32 v35, v36, v8
	v_add_f16_e32 v36, v5, v1
	v_sub_f16_e32 v37, v5, v1
	v_mul_f16_e32 v1, 0x38b4, v78
	v_fmac_f16_e32 v50, 0x34f2, v32
	v_fmac_f16_e32 v77, 0x34f2, v72
	v_mul_f16_e32 v5, 0x3b9c, v83
	v_add_f16_e32 v7, v3, v6
	v_sub_f16_e32 v3, v3, v6
	v_mul_f16_e32 v6, 0x34f2, v44
	ds_write_b16 v47, v2
	v_mul_f16_e32 v2, 0x3a79, v60
	v_fmac_f16_e32 v54, 0xb8b4, v43
	v_fmac_f16_e32 v66, 0x38b4, v43
	;; [unrolled: 1-line block ×14, first 2 shown]
	ds_write_b16 v47, v4 offset:640
	v_mul_f16_e32 v4, 0xb8b4, v64
	v_mul_f16_e32 v8, 0xbb9c, v74
	;; [unrolled: 1-line block ×8, first 2 shown]
	v_fmac_f16_e32 v1, 0x3a79, v64
	v_fmac_f16_e32 v52, 0x34f2, v45
	;; [unrolled: 1-line block ×3, first 2 shown]
	v_mul_f16_e32 v43, 0x34f2, v77
	v_mul_f16_e32 v45, 0x3a79, v50
	v_fmac_f16_e32 v5, 0x34f2, v74
	v_fma_f16 v6, v69, 0x3b9c, -v6
	v_fma_f16 v2, v70, 0x38b4, -v2
	v_fmac_f16_e32 v54, 0x34f2, v56
	v_fmac_f16_e32 v66, 0x34f2, v56
	;; [unrolled: 1-line block ×8, first 2 shown]
	v_fma_f16 v27, v44, 0xbb9c, -v27
	v_fma_f16 v28, v60, 0xb8b4, -v28
	v_fmac_f16_e32 v29, 0x3a79, v59
	v_fmac_f16_e32 v31, 0x34f2, v71
	v_fma_f16 v32, v77, 0x3b9c, -v32
	v_fma_f16 v40, v50, 0x38b4, -v40
	v_add_f16_e32 v44, v48, v1
	v_fma_f16 v38, v38, 0xbb9c, -v43
	v_fma_f16 v43, v68, 0xb8b4, -v45
	v_add_f16_e32 v45, v49, v5
	v_add_f16_e32 v50, v25, v6
	;; [unrolled: 1-line block ×3, first 2 shown]
	v_fmac_f16_e32 v33, 0x34f2, v57
	v_fmac_f16_e32 v67, 0x34f2, v57
	v_add_f16_e32 v55, v52, v4
	v_sub_f16_e32 v1, v48, v1
	v_add_f16_e32 v48, v54, v8
	v_sub_f16_e32 v5, v49, v5
	;; [unrolled: 2-line block ×4, first 2 shown]
	v_sub_f16_e32 v52, v52, v4
	v_sub_f16_e32 v54, v54, v8
	;; [unrolled: 1-line block ×4, first 2 shown]
	v_add_f16_e32 v4, v87, v29
	v_add_f16_e32 v8, v89, v31
	;; [unrolled: 1-line block ×4, first 2 shown]
	v_sub_f16_e32 v28, v87, v29
	v_sub_f16_e32 v29, v89, v31
	;; [unrolled: 1-line block ×4, first 2 shown]
	ds_write_b16 v47, v44 offset:128
	ds_write_b16 v47, v45 offset:256
	;; [unrolled: 1-line block ×8, first 2 shown]
	ds_write_b16 v46, v7
	ds_write_b16 v46, v4 offset:128
	ds_write_b16 v46, v8 offset:256
	;; [unrolled: 1-line block ×9, first 2 shown]
	s_waitcnt lgkmcnt(0)
	s_barrier
	buffer_gl0_inv
	ds_read_u16 v25, v20
	ds_read_u16 v28, v20 offset:1280
	ds_read_u16 v3, v20 offset:1536
	;; [unrolled: 1-line block ×6, first 2 shown]
	ds_read_u16 v1, v21
	ds_read_u16 v2, v22
	;; [unrolled: 1-line block ×4, first 2 shown]
	ds_read_u16 v4, v20 offset:2816
	ds_read_u16 v31, v20 offset:2560
	;; [unrolled: 1-line block ×9, first 2 shown]
	v_mul_f16_e32 v41, 0xb8b4, v59
	v_mul_f16_e32 v42, 0xbb9c, v71
	v_add_f16_e32 v60, v67, v38
	v_add_f16_e32 v61, v39, v43
	v_sub_f16_e32 v38, v67, v38
	v_fmac_f16_e32 v41, 0x3a79, v91
	v_fmac_f16_e32 v42, 0x34f2, v92
	v_sub_f16_e32 v39, v39, v43
	s_waitcnt lgkmcnt(0)
	s_barrier
	v_add_f16_e32 v58, v93, v41
	v_add_f16_e32 v59, v33, v42
	v_sub_f16_e32 v40, v93, v41
	v_sub_f16_e32 v33, v33, v42
	buffer_gl0_inv
	ds_write_b16 v47, v34
	ds_write_b16 v47, v55 offset:128
	ds_write_b16 v47, v48 offset:256
	;; [unrolled: 1-line block ×9, first 2 shown]
	ds_write_b16 v46, v36
	ds_write_b16 v46, v58 offset:128
	ds_write_b16 v46, v59 offset:256
	;; [unrolled: 1-line block ×9, first 2 shown]
	s_waitcnt lgkmcnt(0)
	s_barrier
	buffer_gl0_inv
	s_and_saveexec_b32 s0, vcc_lo
	s_cbranch_execz .LBB0_15
; %bb.14:
	v_mul_u32_u24_e32 v33, 3, v0
	v_mul_i32_i24_e32 v45, 3, v15
	v_mov_b32_e32 v46, 0
	v_or_b32_e32 v48, 0x1600, v11
	v_or_b32_e32 v49, 0x2000, v11
	v_lshlrev_b32_e32 v33, 2, v33
	v_or_b32_e32 v50, 0x1800, v11
	v_lshlrev_b64 v[36:37], 2, v[45:46]
	v_mul_i32_i24_e32 v45, 3, v14
	v_mul_i32_i24_e32 v14, -6, v14
	v_add_co_u32 v33, s0, s8, v33
	v_add_co_ci_u32_e64 v34, null, s9, 0, s0
	v_lshlrev_b64 v[39:40], 2, v[45:46]
	v_add_co_u32 v33, vcc_lo, 0x800, v33
	v_add_co_ci_u32_e32 v34, vcc_lo, 0, v34, vcc_lo
	v_add_co_u32 v36, vcc_lo, s8, v36
	v_add_co_ci_u32_e32 v37, vcc_lo, s9, v37, vcc_lo
	v_mul_i32_i24_e32 v45, 3, v13
	v_add_co_u32 v36, vcc_lo, 0x800, v36
	global_load_dwordx3 v[33:35], v[33:34], off offset:496
	v_add_co_ci_u32_e32 v37, vcc_lo, 0, v37, vcc_lo
	v_add_co_u32 v39, vcc_lo, s8, v39
	v_add_co_ci_u32_e32 v40, vcc_lo, s9, v40, vcc_lo
	global_load_dwordx3 v[36:38], v[36:37], off offset:496
	v_lshlrev_b64 v[42:43], 2, v[45:46]
	v_add_co_u32 v39, vcc_lo, 0x800, v39
	v_mul_i32_i24_e32 v45, 3, v12
	v_add_co_ci_u32_e32 v40, vcc_lo, 0, v40, vcc_lo
	v_add_co_u32 v42, vcc_lo, s8, v42
	v_add_co_ci_u32_e32 v43, vcc_lo, s9, v43, vcc_lo
	v_lshlrev_b64 v[45:46], 2, v[45:46]
	v_add_co_u32 v42, vcc_lo, 0x800, v42
	v_add_co_ci_u32_e32 v43, vcc_lo, 0, v43, vcc_lo
	global_load_dwordx3 v[39:41], v[39:40], off offset:496
	v_add_co_u32 v45, vcc_lo, s8, v45
	global_load_dwordx3 v[42:44], v[42:43], off offset:496
	v_add_co_ci_u32_e32 v46, vcc_lo, s9, v46, vcc_lo
	v_add_co_u32 v45, vcc_lo, 0x800, v45
	v_mul_i32_i24_e32 v12, -6, v12
	v_add_co_ci_u32_e32 v46, vcc_lo, 0, v46, vcc_lo
	v_add_co_u32 v62, vcc_lo, s2, v9
	v_add_co_ci_u32_e32 v63, vcc_lo, s3, v10, vcc_lo
	global_load_dwordx3 v[45:47], v[45:46], off offset:496
	ds_read_u16 v66, v20 offset:4864
	ds_read_u16 v67, v20 offset:4608
	;; [unrolled: 1-line block ×15, first 2 shown]
	ds_read_u16 v81, v20
	v_or_b32_e32 v20, 0xc00, v11
	v_add_co_u32 v9, vcc_lo, v62, v11
	v_mul_i32_i24_e32 v13, -6, v13
	v_add_co_ci_u32_e32 v10, vcc_lo, 0, v63, vcc_lo
	v_or_b32_e32 v51, 0x2200, v11
	v_or_b32_e32 v52, 0x1000, v11
	;; [unrolled: 1-line block ×8, first 2 shown]
	v_add_co_u32 v11, vcc_lo, v62, v20
	v_mul_i32_i24_e32 v15, -6, v15
	v_add_nc_u32_e32 v84, v16, v12
	v_add_co_ci_u32_e32 v12, vcc_lo, 0, v63, vcc_lo
	v_add_nc_u32_e32 v83, v17, v13
	v_add_co_u32 v13, vcc_lo, v62, v48
	v_lshl_or_b32 v0, v0, 2, 0xe00
	v_add_nc_u32_e32 v82, v18, v14
	v_add_co_ci_u32_e32 v14, vcc_lo, 0, v63, vcc_lo
	v_add_nc_u32_e32 v65, v19, v15
	v_add_co_u32 v15, vcc_lo, v62, v49
	v_add_co_ci_u32_e32 v16, vcc_lo, 0, v63, vcc_lo
	v_add_co_u32 v17, vcc_lo, v62, v0
	v_add_co_ci_u32_e32 v18, vcc_lo, 0, v63, vcc_lo
	;; [unrolled: 2-line block ×5, first 2 shown]
	v_add_co_u32 v52, vcc_lo, v62, v53
	ds_read_u16 v0, v65
	ds_read_u16 v82, v82
	;; [unrolled: 1-line block ×4, first 2 shown]
	v_add_co_ci_u32_e32 v53, vcc_lo, 0, v63, vcc_lo
	v_add_co_u32 v54, vcc_lo, v62, v54
	v_add_co_ci_u32_e32 v55, vcc_lo, 0, v63, vcc_lo
	v_add_co_u32 v56, vcc_lo, v62, v56
	;; [unrolled: 2-line block ×6, first 2 shown]
	v_add_co_ci_u32_e32 v65, vcc_lo, 0, v10, vcc_lo
	s_waitcnt vmcnt(4)
	v_lshrrev_b32_e32 v85, 16, v33
	v_lshrrev_b32_e32 v87, 16, v35
	s_waitcnt lgkmcnt(5)
	v_mul_f16_e32 v88, v33, v80
	v_lshrrev_b32_e32 v86, 16, v34
	v_mul_f16_e32 v80, v85, v80
	v_mul_f16_e32 v90, v87, v70
	;; [unrolled: 1-line block ×3, first 2 shown]
	s_waitcnt vmcnt(3)
	v_lshrrev_b32_e32 v91, 16, v37
	v_fmac_f16_e32 v88, v28, v85
	v_fma_f16 v80, v28, v33, -v80
	v_lshrrev_b32_e32 v28, 16, v38
	v_fmac_f16_e32 v70, v32, v87
	v_mul_f16_e32 v87, v38, v66
	v_mul_f16_e32 v89, v86, v75
	;; [unrolled: 1-line block ×3, first 2 shown]
	v_fma_f16 v35, v32, v35, -v90
	v_lshrrev_b32_e32 v90, 16, v36
	v_mul_f16_e32 v85, v36, v76
	v_mul_f16_e32 v92, v37, v71
	;; [unrolled: 1-line block ×3, first 2 shown]
	v_fmac_f16_e32 v87, v29, v28
	v_mul_f16_e32 v28, v28, v66
	v_fmac_f16_e32 v75, v31, v86
	v_fmac_f16_e32 v85, v24, v90
	;; [unrolled: 1-line block ×3, first 2 shown]
	v_mul_f16_e32 v76, v90, v76
	s_waitcnt vmcnt(2)
	v_lshrrev_b32_e32 v66, 16, v39
	v_lshrrev_b32_e32 v86, 16, v40
	;; [unrolled: 1-line block ×3, first 2 shown]
	v_fma_f16 v30, v30, v37, -v71
	v_mul_f16_e32 v37, v39, v77
	v_fma_f16 v28, v29, v38, -v28
	v_mul_f16_e32 v29, v40, v72
	;; [unrolled: 2-line block ×3, first 2 shown]
	v_mul_f16_e32 v72, v86, v72
	v_fmac_f16_e32 v37, v26, v66
	v_fmac_f16_e32 v29, v27, v86
	v_mul_f16_e32 v66, v66, v77
	v_mul_f16_e32 v67, v90, v67
	s_waitcnt vmcnt(1)
	v_lshrrev_b32_e32 v76, 16, v42
	v_lshrrev_b32_e32 v86, 16, v44
	v_fma_f16 v89, v31, v34, -v89
	v_lshrrev_b32_e32 v77, 16, v43
	v_sub_f16_e32 v71, v85, v87
	v_fmac_f16_e32 v36, v23, v90
	v_mul_f16_e32 v87, v42, v78
	v_mul_f16_e32 v90, v44, v68
	v_fma_f16 v27, v27, v40, -v72
	v_fma_f16 v26, v26, v39, -v66
	;; [unrolled: 1-line block ×3, first 2 shown]
	v_mul_f16_e32 v40, v76, v78
	v_mul_f16_e32 v41, v86, v68
	s_waitcnt vmcnt(0)
	v_lshrrev_b32_e32 v66, 16, v45
	v_lshrrev_b32_e32 v67, 16, v46
	;; [unrolled: 1-line block ×3, first 2 shown]
	v_sub_f16_e32 v38, v88, v70
	s_waitcnt lgkmcnt(4)
	v_sub_f16_e32 v70, v81, v75
	v_mul_f16_e32 v91, v43, v73
	v_sub_f16_e32 v89, v25, v89
	v_sub_f16_e32 v35, v80, v35
	v_mul_f16_e32 v39, v77, v73
	v_fmac_f16_e32 v87, v7, v76
	v_fmac_f16_e32 v90, v21, v86
	v_mul_f16_e32 v72, v45, v79
	v_mul_f16_e32 v73, v47, v69
	;; [unrolled: 1-line block ×3, first 2 shown]
	v_fma_f16 v7, v7, v42, -v40
	v_fma_f16 v21, v21, v44, -v41
	v_mul_f16_e32 v40, v67, v74
	v_mul_f16_e32 v41, v66, v79
	;; [unrolled: 1-line block ×3, first 2 shown]
	s_waitcnt lgkmcnt(3)
	v_sub_f16_e32 v75, v0, v92
	v_fma_f16 v88, v88, 2.0, -v38
	v_sub_f16_e32 v30, v22, v30
	v_sub_f16_e32 v28, v24, v28
	v_fmac_f16_e32 v91, v8, v77
	v_sub_f16_e32 v38, v89, v38
	v_add_f16_e32 v77, v70, v35
	v_fma_f16 v81, v81, 2.0, -v70
	v_fma_f16 v25, v25, 2.0, -v89
	;; [unrolled: 1-line block ×3, first 2 shown]
	v_sub_f16_e32 v36, v37, v36
	s_waitcnt lgkmcnt(2)
	v_sub_f16_e32 v29, v82, v29
	v_fma_f16 v8, v8, v43, -v39
	v_add_co_u32 v33, vcc_lo, 0x1000, v9
	v_sub_f16_e32 v27, v6, v27
	v_sub_f16_e32 v23, v26, v23
	v_fmac_f16_e32 v72, v3, v66
	v_fmac_f16_e32 v73, v5, v68
	;; [unrolled: 1-line block ×3, first 2 shown]
	v_fma_f16 v4, v4, v46, -v40
	v_fma_f16 v3, v3, v45, -v41
	v_fma_f16 v5, v5, v47, -v42
	v_add_co_ci_u32_e32 v34, vcc_lo, 0, v10, vcc_lo
	v_fma_f16 v0, v0, 2.0, -v75
	v_fma_f16 v85, v85, 2.0, -v71
	;; [unrolled: 1-line block ×6, first 2 shown]
	v_add_co_u32 v31, vcc_lo, 0x1800, v9
	v_sub_f16_e32 v78, v81, v88
	v_sub_f16_e32 v35, v25, v35
	v_fma_f16 v82, v82, 2.0, -v29
	v_fma_f16 v37, v37, 2.0, -v36
	v_sub_f16_e32 v39, v87, v90
	s_waitcnt lgkmcnt(1)
	v_sub_f16_e32 v43, v83, v91
	v_sub_f16_e32 v8, v2, v8
	;; [unrolled: 1-line block ×3, first 2 shown]
	v_add_co_ci_u32_e32 v32, vcc_lo, 0, v10, vcc_lo
	v_sub_f16_e32 v71, v30, v71
	v_add_f16_e32 v80, v75, v28
	v_pack_b32_f16 v38, v38, v77
	v_sub_f16_e32 v36, v27, v36
	v_add_f16_e32 v69, v29, v23
	v_sub_f16_e32 v40, v72, v73
	s_waitcnt lgkmcnt(0)
	v_sub_f16_e32 v46, v84, v76
	v_sub_f16_e32 v4, v1, v4
	;; [unrolled: 1-line block ×3, first 2 shown]
	v_fma_f16 v6, v6, 2.0, -v27
	v_fma_f16 v23, v26, 2.0, -v23
	v_sub_f16_e32 v28, v0, v85
	v_sub_f16_e32 v24, v22, v24
	v_pack_b32_f16 v42, v44, v66
	v_fma_f16 v25, v25, 2.0, -v35
	v_pack_b32_f16 v35, v35, v78
	v_sub_f16_e32 v26, v82, v37
	v_fma_f16 v37, v83, 2.0, -v43
	v_fma_f16 v70, v87, 2.0, -v39
	;; [unrolled: 1-line block ×6, first 2 shown]
	global_store_dword v[31:32], v38, off offset:1536
	v_fma_f16 v27, v27, 2.0, -v36
	v_fma_f16 v29, v29, 2.0, -v69
	v_sub_f16_e32 v32, v8, v39
	v_add_f16_e32 v38, v43, v21
	v_fma_f16 v39, v84, 2.0, -v46
	v_fma_f16 v44, v72, 2.0, -v40
	;; [unrolled: 1-line block ×4, first 2 shown]
	v_sub_f16_e32 v23, v6, v23
	v_fma_f16 v67, v81, 2.0, -v78
	v_fma_f16 v0, v0, 2.0, -v28
	;; [unrolled: 1-line block ×3, first 2 shown]
	global_store_dword v[64:65], v42, off offset:512
	global_store_dword v[33:34], v35, off offset:1024
	v_sub_f16_e32 v34, v4, v40
	v_add_f16_e32 v35, v46, v5
	v_sub_f16_e32 v21, v37, v70
	v_sub_f16_e32 v7, v2, v7
	v_pack_b32_f16 v36, v36, v69
	v_pack_b32_f16 v30, v30, v68
	v_fma_f16 v8, v8, 2.0, -v32
	v_sub_f16_e32 v5, v39, v44
	v_pack_b32_f16 v32, v32, v38
	v_pack_b32_f16 v27, v27, v29
	v_sub_f16_e32 v3, v1, v3
	v_fma_f16 v31, v82, 2.0, -v26
	v_pack_b32_f16 v24, v24, v28
	v_fma_f16 v6, v6, 2.0, -v23
	v_fma_f16 v28, v43, 2.0, -v38
	v_pack_b32_f16 v23, v23, v26
	v_pack_b32_f16 v25, v25, v67
	;; [unrolled: 1-line block ×3, first 2 shown]
	v_fma_f16 v4, v4, 2.0, -v34
	v_fma_f16 v22, v46, 2.0, -v35
	;; [unrolled: 1-line block ×4, first 2 shown]
	global_store_dword v[54:55], v36, off
	global_store_dword v[58:59], v30, off
	;; [unrolled: 1-line block ×4, first 2 shown]
	v_fma_f16 v24, v39, 2.0, -v5
	global_store_dword v[48:49], v32, off
	global_store_dword v[50:51], v27, off
	;; [unrolled: 1-line block ×4, first 2 shown]
	v_fma_f16 v0, v1, 2.0, -v3
	v_pack_b32_f16 v25, v34, v35
	v_pack_b32_f16 v8, v8, v28
	;; [unrolled: 1-line block ×9, first 2 shown]
	global_store_dword v[15:16], v25, off
	global_store_dword v[17:18], v8, off
	;; [unrolled: 1-line block ×3, first 2 shown]
	global_store_dword v[9:10], v6, off offset:1536
	global_store_dword v[11:12], v1, off
	global_store_dword v[13:14], v3, off
	global_store_dword v[9:10], v2, off offset:1024
	global_store_dword v[9:10], v0, off offset:512
	global_store_dword v[62:63], v41, off
.LBB0_15:
	s_endpgm
	.section	.rodata,"a",@progbits
	.p2align	6, 0x0
	.amdhsa_kernel fft_rtc_fwd_len2560_factors_4_4_4_10_4_wgs_128_tpt_128_halfLds_half_ip_CI_unitstride_sbrr_dirReg
		.amdhsa_group_segment_fixed_size 0
		.amdhsa_private_segment_fixed_size 0
		.amdhsa_kernarg_size 88
		.amdhsa_user_sgpr_count 6
		.amdhsa_user_sgpr_private_segment_buffer 1
		.amdhsa_user_sgpr_dispatch_ptr 0
		.amdhsa_user_sgpr_queue_ptr 0
		.amdhsa_user_sgpr_kernarg_segment_ptr 1
		.amdhsa_user_sgpr_dispatch_id 0
		.amdhsa_user_sgpr_flat_scratch_init 0
		.amdhsa_user_sgpr_private_segment_size 0
		.amdhsa_wavefront_size32 1
		.amdhsa_uses_dynamic_stack 0
		.amdhsa_system_sgpr_private_segment_wavefront_offset 0
		.amdhsa_system_sgpr_workgroup_id_x 1
		.amdhsa_system_sgpr_workgroup_id_y 0
		.amdhsa_system_sgpr_workgroup_id_z 0
		.amdhsa_system_sgpr_workgroup_info 0
		.amdhsa_system_vgpr_workitem_id 0
		.amdhsa_next_free_vgpr 94
		.amdhsa_next_free_sgpr 21
		.amdhsa_reserve_vcc 1
		.amdhsa_reserve_flat_scratch 0
		.amdhsa_float_round_mode_32 0
		.amdhsa_float_round_mode_16_64 0
		.amdhsa_float_denorm_mode_32 3
		.amdhsa_float_denorm_mode_16_64 3
		.amdhsa_dx10_clamp 1
		.amdhsa_ieee_mode 1
		.amdhsa_fp16_overflow 0
		.amdhsa_workgroup_processor_mode 1
		.amdhsa_memory_ordered 1
		.amdhsa_forward_progress 0
		.amdhsa_shared_vgpr_count 0
		.amdhsa_exception_fp_ieee_invalid_op 0
		.amdhsa_exception_fp_denorm_src 0
		.amdhsa_exception_fp_ieee_div_zero 0
		.amdhsa_exception_fp_ieee_overflow 0
		.amdhsa_exception_fp_ieee_underflow 0
		.amdhsa_exception_fp_ieee_inexact 0
		.amdhsa_exception_int_div_zero 0
	.end_amdhsa_kernel
	.text
.Lfunc_end0:
	.size	fft_rtc_fwd_len2560_factors_4_4_4_10_4_wgs_128_tpt_128_halfLds_half_ip_CI_unitstride_sbrr_dirReg, .Lfunc_end0-fft_rtc_fwd_len2560_factors_4_4_4_10_4_wgs_128_tpt_128_halfLds_half_ip_CI_unitstride_sbrr_dirReg
                                        ; -- End function
	.section	.AMDGPU.csdata,"",@progbits
; Kernel info:
; codeLenInByte = 11480
; NumSgprs: 23
; NumVgprs: 94
; ScratchSize: 0
; MemoryBound: 0
; FloatMode: 240
; IeeeMode: 1
; LDSByteSize: 0 bytes/workgroup (compile time only)
; SGPRBlocks: 2
; VGPRBlocks: 11
; NumSGPRsForWavesPerEU: 23
; NumVGPRsForWavesPerEU: 94
; Occupancy: 10
; WaveLimiterHint : 1
; COMPUTE_PGM_RSRC2:SCRATCH_EN: 0
; COMPUTE_PGM_RSRC2:USER_SGPR: 6
; COMPUTE_PGM_RSRC2:TRAP_HANDLER: 0
; COMPUTE_PGM_RSRC2:TGID_X_EN: 1
; COMPUTE_PGM_RSRC2:TGID_Y_EN: 0
; COMPUTE_PGM_RSRC2:TGID_Z_EN: 0
; COMPUTE_PGM_RSRC2:TIDIG_COMP_CNT: 0
	.text
	.p2alignl 6, 3214868480
	.fill 48, 4, 3214868480
	.type	__hip_cuid_f3de9339f595fb4d,@object ; @__hip_cuid_f3de9339f595fb4d
	.section	.bss,"aw",@nobits
	.globl	__hip_cuid_f3de9339f595fb4d
__hip_cuid_f3de9339f595fb4d:
	.byte	0                               ; 0x0
	.size	__hip_cuid_f3de9339f595fb4d, 1

	.ident	"AMD clang version 19.0.0git (https://github.com/RadeonOpenCompute/llvm-project roc-6.4.0 25133 c7fe45cf4b819c5991fe208aaa96edf142730f1d)"
	.section	".note.GNU-stack","",@progbits
	.addrsig
	.addrsig_sym __hip_cuid_f3de9339f595fb4d
	.amdgpu_metadata
---
amdhsa.kernels:
  - .args:
      - .actual_access:  read_only
        .address_space:  global
        .offset:         0
        .size:           8
        .value_kind:     global_buffer
      - .offset:         8
        .size:           8
        .value_kind:     by_value
      - .actual_access:  read_only
        .address_space:  global
        .offset:         16
        .size:           8
        .value_kind:     global_buffer
      - .actual_access:  read_only
        .address_space:  global
        .offset:         24
        .size:           8
        .value_kind:     global_buffer
      - .offset:         32
        .size:           8
        .value_kind:     by_value
      - .actual_access:  read_only
        .address_space:  global
        .offset:         40
        .size:           8
        .value_kind:     global_buffer
      - .actual_access:  read_only
        .address_space:  global
        .offset:         48
        .size:           8
        .value_kind:     global_buffer
      - .offset:         56
        .size:           4
        .value_kind:     by_value
      - .actual_access:  read_only
        .address_space:  global
        .offset:         64
        .size:           8
        .value_kind:     global_buffer
      - .actual_access:  read_only
        .address_space:  global
        .offset:         72
        .size:           8
        .value_kind:     global_buffer
      - .address_space:  global
        .offset:         80
        .size:           8
        .value_kind:     global_buffer
    .group_segment_fixed_size: 0
    .kernarg_segment_align: 8
    .kernarg_segment_size: 88
    .language:       OpenCL C
    .language_version:
      - 2
      - 0
    .max_flat_workgroup_size: 128
    .name:           fft_rtc_fwd_len2560_factors_4_4_4_10_4_wgs_128_tpt_128_halfLds_half_ip_CI_unitstride_sbrr_dirReg
    .private_segment_fixed_size: 0
    .sgpr_count:     23
    .sgpr_spill_count: 0
    .symbol:         fft_rtc_fwd_len2560_factors_4_4_4_10_4_wgs_128_tpt_128_halfLds_half_ip_CI_unitstride_sbrr_dirReg.kd
    .uniform_work_group_size: 1
    .uses_dynamic_stack: false
    .vgpr_count:     94
    .vgpr_spill_count: 0
    .wavefront_size: 32
    .workgroup_processor_mode: 1
amdhsa.target:   amdgcn-amd-amdhsa--gfx1030
amdhsa.version:
  - 1
  - 2
...

	.end_amdgpu_metadata
